;; amdgpu-corpus repo=LLNL/RAJAPerf kind=compiled arch=gfx906 opt=O3
	.amdgcn_target "amdgcn-amd-amdhsa--gfx906"
	.amdhsa_code_object_version 6
	.section	.text._ZN8rajaperf4apps15Mass3DPA_AtomicILm64EEEvPdS2_S2_PlS2_,"axG",@progbits,_ZN8rajaperf4apps15Mass3DPA_AtomicILm64EEEvPdS2_S2_PlS2_,comdat
	.protected	_ZN8rajaperf4apps15Mass3DPA_AtomicILm64EEEvPdS2_S2_PlS2_ ; -- Begin function _ZN8rajaperf4apps15Mass3DPA_AtomicILm64EEEvPdS2_S2_PlS2_
	.globl	_ZN8rajaperf4apps15Mass3DPA_AtomicILm64EEEvPdS2_S2_PlS2_
	.p2align	8
	.type	_ZN8rajaperf4apps15Mass3DPA_AtomicILm64EEEvPdS2_S2_PlS2_,@function
_ZN8rajaperf4apps15Mass3DPA_AtomicILm64EEEvPdS2_S2_PlS2_: ; @_ZN8rajaperf4apps15Mass3DPA_AtomicILm64EEEvPdS2_S2_PlS2_
; %bb.0:
	s_load_dwordx8 s[8:15], s[4:5], 0x0
	s_load_dwordx2 s[16:17], s[4:5], 0x20
	s_mov_b32 s7, 0
	v_cmp_gt_u32_e32 vcc, 3, v2
	s_and_saveexec_b64 s[2:3], vcc
	s_cbranch_execz .LBB0_4
; %bb.1:
	v_cmp_gt_u32_e64 s[0:1], 3, v1
	s_and_b64 exec, exec, s[0:1]
	s_cbranch_execz .LBB0_4
; %bb.2:
	v_cmp_gt_u32_e64 s[0:1], 3, v0
	s_and_b64 exec, exec, s[0:1]
	s_cbranch_execz .LBB0_4
; %bb.3:
	v_mov_b32_e32 v3, v1
	v_mul_u32_u24_e32 v4, 3, v2
	v_mov_b32_e32 v1, 0
	v_add_u32_e32 v4, v4, v3
	v_mad_u64_u32 v[4:5], s[0:1], v4, 3, v[0:1]
	v_mov_b32_e32 v1, v3
	s_waitcnt lgkmcnt(0)
	v_mov_b32_e32 v3, s15
	v_lshlrev_b64 v[5:6], 3, v[4:5]
	v_add_co_u32_e64 v5, s[0:1], s14, v5
	v_addc_co_u32_e64 v6, s[0:1], v3, v6, s[0:1]
	v_mov_b32_e32 v3, 0xd8
	v_mad_u64_u32 v[5:6], s[0:1], s6, v3, v[5:6]
	v_mov_b32_e32 v3, s13
	global_load_dwordx2 v[5:6], v[5:6], off
	s_waitcnt vmcnt(0)
	v_lshlrev_b64 v[7:8], 3, v[5:6]
	v_add_co_u32_e64 v7, s[0:1], s12, v7
	v_addc_co_u32_e64 v8, s[0:1], v3, v8, s[0:1]
	global_load_dwordx2 v[7:8], v[7:8], off
	v_lshlrev_b32_e32 v3, 3, v4
	ds_write_b64 v3, v[5:6] offset:1024
	v_mul_u32_u24_e32 v3, 0x48, v2
	v_mul_u32_u24_e32 v4, 24, v1
	v_lshlrev_b32_e32 v5, 3, v0
	v_add3_u32 v3, v3, v4, v5
	s_waitcnt vmcnt(0)
	ds_write_b64 v3, v[7:8]
.LBB0_4:
	s_or_b64 exec, exec, s[2:3]
	v_cmp_gt_u32_e64 s[2:3], 3, v1
	v_cmp_gt_u32_e64 s[4:5], 4, v0
	v_cmp_eq_u32_e64 s[0:1], 0, v2
	s_and_b64 s[2:3], s[2:3], s[4:5]
	s_and_b64 s[0:1], s[2:3], s[0:1]
	s_and_saveexec_b64 s[2:3], s[0:1]
	s_cbranch_execz .LBB0_6
; %bb.5:
	v_lshlrev_b32_e32 v5, 5, v1
	s_waitcnt lgkmcnt(0)
	v_mov_b32_e32 v3, s9
	v_add_co_u32_e64 v4, s[0:1], s8, v5
	v_addc_co_u32_e64 v6, s[0:1], 0, v3, s[0:1]
	v_lshlrev_b32_e32 v7, 3, v0
	v_add_co_u32_e64 v3, s[0:1], v4, v7
	v_addc_co_u32_e64 v4, s[0:1], 0, v6, s[0:1]
	global_load_dwordx2 v[3:4], v[3:4], off
	v_lshlrev_b32_e32 v6, 3, v1
	v_mad_u32_u24 v6, v0, 24, v6
	v_add_u32_e32 v5, v5, v7
	s_waitcnt vmcnt(0)
	ds_write_b64 v6, v[3:4] offset:1248
	ds_write_b64 v5, v[3:4] offset:1344
.LBB0_6:
	s_or_b64 exec, exec, s[2:3]
	s_waitcnt lgkmcnt(0)
	; wave barrier
	s_and_saveexec_b64 s[2:3], vcc
	s_cbranch_execz .LBB0_10
; %bb.7:
	v_cmp_gt_u32_e64 s[0:1], 3, v1
	s_and_b64 exec, exec, s[0:1]
	s_cbranch_execz .LBB0_10
; %bb.8:
	v_cmp_gt_u32_e64 s[0:1], 4, v0
	s_and_b64 exec, exec, s[0:1]
	s_cbranch_execz .LBB0_10
; %bb.9:
	v_mul_u32_u24_e32 v3, 24, v1
	s_movk_i32 s0, 0x48
	v_mad_u32_u24 v11, v2, s0, v3
	v_mul_u32_u24_e32 v13, 24, v0
	ds_read2_b64 v[3:6], v13 offset0:156 offset1:157
	ds_read2_b64 v[7:10], v11 offset1:1
	ds_read_b64 v[11:12], v11 offset:16
	ds_read_b64 v[13:14], v13 offset:1264
	s_waitcnt lgkmcnt(2)
	v_fma_f64 v[3:4], v[7:8], v[3:4], 0
	v_lshlrev_b32_e32 v7, 3, v0
	v_fma_f64 v[3:4], v[9:10], v[5:6], v[3:4]
	v_mul_u32_u24_e32 v5, 0x60, v2
	v_lshlrev_b32_e32 v6, 5, v1
	v_add3_u32 v5, v5, v6, v7
	s_waitcnt lgkmcnt(0)
	v_fma_f64 v[3:4], v[11:12], v[13:14], v[3:4]
	ds_write_b64 v5, v[3:4] offset:512
.LBB0_10:
	s_or_b64 exec, exec, s[2:3]
	s_waitcnt lgkmcnt(0)
	; wave barrier
	s_and_saveexec_b64 s[2:3], vcc
	s_cbranch_execz .LBB0_14
; %bb.11:
	v_cmp_gt_u32_e64 s[0:1], 4, v1
	s_and_b64 exec, exec, s[0:1]
	s_cbranch_execz .LBB0_14
; %bb.12:
	v_cmp_gt_u32_e64 s[0:1], 4, v0
	s_and_b64 exec, exec, s[0:1]
	s_cbranch_execz .LBB0_14
; %bb.13:
	v_lshlrev_b32_e32 v13, 3, v0
	s_movk_i32 s0, 0x60
	v_mad_u32_u24 v11, v2, s0, v13
	v_mul_u32_u24_e32 v14, 24, v1
	ds_read2_b64 v[3:6], v11 offset0:64 offset1:68
	ds_read2_b64 v[7:10], v14 offset0:156 offset1:157
	ds_read_b64 v[11:12], v11 offset:576
	s_waitcnt lgkmcnt(1)
	v_fma_f64 v[3:4], v[3:4], v[7:8], 0
	v_fma_f64 v[3:4], v[5:6], v[9:10], v[3:4]
	ds_read_b64 v[5:6], v14 offset:1264
	s_waitcnt lgkmcnt(0)
	v_fma_f64 v[3:4], v[11:12], v[5:6], v[3:4]
	v_lshlrev_b32_e32 v5, 7, v2
	v_lshlrev_b32_e32 v6, 5, v1
	v_add3_u32 v5, v5, v6, v13
	ds_write_b64 v5, v[3:4]
.LBB0_14:
	s_or_b64 exec, exec, s[2:3]
	v_cmp_gt_u32_e64 s[0:1], 4, v2
	s_waitcnt lgkmcnt(0)
	; wave barrier
	s_and_saveexec_b64 s[4:5], s[0:1]
	s_cbranch_execz .LBB0_18
; %bb.15:
	v_cmp_gt_u32_e64 s[2:3], 4, v1
	s_and_b64 exec, exec, s[2:3]
	s_cbranch_execz .LBB0_18
; %bb.16:
	v_cmp_gt_u32_e64 s[2:3], 4, v0
	s_and_b64 exec, exec, s[2:3]
	s_cbranch_execz .LBB0_18
; %bb.17:
	v_lshlrev_b32_e32 v13, 5, v1
	v_lshlrev_b32_e32 v14, 3, v0
	v_add_u32_e32 v11, v13, v14
	v_mul_u32_u24_e32 v15, 24, v2
	ds_read2_b64 v[3:6], v11 offset1:16
	ds_read2_b64 v[7:10], v15 offset0:156 offset1:157
	ds_read_b64 v[11:12], v11 offset:256
	s_waitcnt lgkmcnt(1)
	v_fma_f64 v[3:4], v[3:4], v[7:8], 0
	v_mov_b32_e32 v7, s11
	v_fma_f64 v[3:4], v[5:6], v[9:10], v[3:4]
	v_add_co_u32_e64 v5, s[2:3], s10, v13
	v_lshlrev_b32_e32 v9, 7, v2
	v_addc_co_u32_e64 v6, s[2:3], 0, v7, s[2:3]
	v_add_co_u32_e64 v5, s[2:3], v5, v9
	v_addc_co_u32_e64 v6, s[2:3], 0, v6, s[2:3]
	s_lshl_b64 s[2:3], s[6:7], 9
	v_mov_b32_e32 v7, s3
	v_add_co_u32_e64 v5, s[2:3], s2, v5
	v_addc_co_u32_e64 v6, s[2:3], v6, v7, s[2:3]
	v_add_co_u32_e64 v5, s[2:3], v5, v14
	v_addc_co_u32_e64 v6, s[2:3], 0, v6, s[2:3]
	global_load_dwordx2 v[5:6], v[5:6], off
	ds_read_b64 v[7:8], v15 offset:1264
	s_waitcnt lgkmcnt(0)
	v_fma_f64 v[3:4], v[11:12], v[7:8], v[3:4]
	s_waitcnt vmcnt(0)
	v_mul_f64 v[3:4], v[3:4], v[5:6]
	v_add3_u32 v5, v9, v13, v14
	ds_write_b64 v5, v[3:4] offset:512
.LBB0_18:
	s_or_b64 exec, exec, s[4:5]
	s_waitcnt lgkmcnt(0)
	; wave barrier
	s_and_saveexec_b64 s[4:5], s[0:1]
	s_cbranch_execz .LBB0_22
; %bb.19:
	v_cmp_gt_u32_e64 s[2:3], 4, v1
	s_and_b64 exec, exec, s[2:3]
	s_cbranch_execz .LBB0_22
; %bb.20:
	v_cmp_gt_u32_e64 s[2:3], 3, v0
	s_and_b64 exec, exec, s[2:3]
	s_cbranch_execz .LBB0_22
; %bb.21:
	v_lshlrev_b32_e32 v3, 5, v1
	v_lshl_add_u32 v11, v2, 7, v3
	v_lshlrev_b32_e32 v15, 5, v0
	ds_read_b128 v[3:6], v15 offset:1344
	ds_read_b128 v[7:10], v11 offset:512
	;; [unrolled: 1-line block ×4, first 2 shown]
	s_waitcnt lgkmcnt(2)
	v_fma_f64 v[3:4], v[7:8], v[3:4], 0
	v_lshlrev_b32_e32 v7, 3, v0
	v_fma_f64 v[3:4], v[9:10], v[5:6], v[3:4]
	v_mul_u32_u24_e32 v5, 0x60, v2
	v_mul_u32_u24_e32 v6, 24, v1
	v_add3_u32 v5, v5, v6, v7
	s_waitcnt lgkmcnt(0)
	v_fma_f64 v[3:4], v[11:12], v[15:16], v[3:4]
	v_fma_f64 v[3:4], v[13:14], v[17:18], v[3:4]
	ds_write_b64 v5, v[3:4]
.LBB0_22:
	s_or_b64 exec, exec, s[4:5]
	s_waitcnt lgkmcnt(0)
	; wave barrier
	s_and_saveexec_b64 s[2:3], s[0:1]
	s_cbranch_execz .LBB0_26
; %bb.23:
	v_cmp_gt_u32_e64 s[0:1], 3, v1
	s_and_b64 exec, exec, s[0:1]
	s_cbranch_execz .LBB0_26
; %bb.24:
	v_cmp_gt_u32_e64 s[0:1], 3, v0
	s_and_b64 exec, exec, s[0:1]
	s_cbranch_execz .LBB0_26
; %bb.25:
	v_lshlrev_b32_e32 v15, 3, v0
	s_movk_i32 s0, 0x60
	v_mad_u32_u24 v16, v2, s0, v15
	v_lshlrev_b32_e32 v11, 5, v1
	ds_read2_b64 v[3:6], v16 offset1:3
	ds_read_b128 v[7:10], v11 offset:1344
	ds_read_b128 v[11:14], v11 offset:1360
	s_waitcnt lgkmcnt(1)
	v_fma_f64 v[3:4], v[3:4], v[7:8], 0
	v_fma_f64 v[7:8], v[5:6], v[9:10], v[3:4]
	ds_read2_b64 v[3:6], v16 offset0:6 offset1:9
	s_waitcnt lgkmcnt(0)
	v_fma_f64 v[3:4], v[3:4], v[11:12], v[7:8]
	v_fma_f64 v[3:4], v[5:6], v[13:14], v[3:4]
	v_mul_u32_u24_e32 v5, 0x48, v2
	v_mul_u32_u24_e32 v6, 24, v1
	v_add3_u32 v5, v5, v6, v15
	ds_write_b64 v5, v[3:4] offset:512
.LBB0_26:
	s_or_b64 exec, exec, s[2:3]
	s_waitcnt lgkmcnt(0)
	; wave barrier
	s_and_saveexec_b64 s[0:1], vcc
	s_cbranch_execz .LBB0_31
; %bb.27:
	v_cmp_gt_u32_e32 vcc, 3, v1
	s_and_b64 exec, exec, vcc
	s_cbranch_execz .LBB0_31
; %bb.28:
	v_cmp_gt_u32_e32 vcc, 3, v0
	s_and_b64 exec, exec, vcc
	s_cbranch_execz .LBB0_31
; %bb.29:
	v_lshlrev_b32_e32 v15, 3, v0
	v_lshlrev_b32_e32 v0, 5, v2
	v_mad_u32_u24 v16, v1, 24, v15
	ds_read_b128 v[3:6], v0 offset:1344
	ds_read2_b64 v[7:10], v16 offset0:64 offset1:73
	v_mad_u32_u24 v2, v2, 3, v1
	v_mad_u32_u24 v2, v2, 24, v15
	ds_read_b128 v[11:14], v0 offset:1360
	s_mov_b64 s[0:1], 0
	s_waitcnt lgkmcnt(1)
	v_fma_f64 v[0:1], v[7:8], v[3:4], 0
	ds_read_b64 v[2:3], v2 offset:1024
	v_mov_b32_e32 v7, s17
	s_waitcnt lgkmcnt(0)
	v_lshlrev_b64 v[2:3], 3, v[2:3]
	v_add_co_u32_e32 v4, vcc, s16, v2
	v_fma_f64 v[0:1], v[9:10], v[5:6], v[0:1]
	v_addc_co_u32_e32 v5, vcc, v7, v3, vcc
	global_load_dwordx2 v[2:3], v[4:5], off
	ds_read2_b64 v[6:9], v16 offset0:82 offset1:91
	s_waitcnt lgkmcnt(0)
	v_fma_f64 v[0:1], v[6:7], v[11:12], v[0:1]
	v_fma_f64 v[6:7], v[8:9], v[13:14], v[0:1]
.LBB0_30:                               ; =>This Inner Loop Header: Depth=1
	s_waitcnt vmcnt(0)
	v_add_f64 v[0:1], v[2:3], v[6:7]
	global_atomic_cmpswap_x2 v[0:1], v[4:5], v[0:3], off glc
	s_waitcnt vmcnt(0)
	v_cmp_eq_u64_e32 vcc, v[0:1], v[2:3]
	v_mov_b32_e32 v3, v1
	s_or_b64 s[0:1], vcc, s[0:1]
	v_mov_b32_e32 v2, v0
	s_andn2_b64 exec, exec, s[0:1]
	s_cbranch_execnz .LBB0_30
.LBB0_31:
	s_endpgm
	.section	.rodata,"a",@progbits
	.p2align	6, 0x0
	.amdhsa_kernel _ZN8rajaperf4apps15Mass3DPA_AtomicILm64EEEvPdS2_S2_PlS2_
		.amdhsa_group_segment_fixed_size 1440
		.amdhsa_private_segment_fixed_size 0
		.amdhsa_kernarg_size 40
		.amdhsa_user_sgpr_count 6
		.amdhsa_user_sgpr_private_segment_buffer 1
		.amdhsa_user_sgpr_dispatch_ptr 0
		.amdhsa_user_sgpr_queue_ptr 0
		.amdhsa_user_sgpr_kernarg_segment_ptr 1
		.amdhsa_user_sgpr_dispatch_id 0
		.amdhsa_user_sgpr_flat_scratch_init 0
		.amdhsa_user_sgpr_private_segment_size 0
		.amdhsa_uses_dynamic_stack 0
		.amdhsa_system_sgpr_private_segment_wavefront_offset 0
		.amdhsa_system_sgpr_workgroup_id_x 1
		.amdhsa_system_sgpr_workgroup_id_y 0
		.amdhsa_system_sgpr_workgroup_id_z 0
		.amdhsa_system_sgpr_workgroup_info 0
		.amdhsa_system_vgpr_workitem_id 2
		.amdhsa_next_free_vgpr 19
		.amdhsa_next_free_sgpr 18
		.amdhsa_reserve_vcc 1
		.amdhsa_reserve_flat_scratch 0
		.amdhsa_float_round_mode_32 0
		.amdhsa_float_round_mode_16_64 0
		.amdhsa_float_denorm_mode_32 3
		.amdhsa_float_denorm_mode_16_64 3
		.amdhsa_dx10_clamp 1
		.amdhsa_ieee_mode 1
		.amdhsa_fp16_overflow 0
		.amdhsa_exception_fp_ieee_invalid_op 0
		.amdhsa_exception_fp_denorm_src 0
		.amdhsa_exception_fp_ieee_div_zero 0
		.amdhsa_exception_fp_ieee_overflow 0
		.amdhsa_exception_fp_ieee_underflow 0
		.amdhsa_exception_fp_ieee_inexact 0
		.amdhsa_exception_int_div_zero 0
	.end_amdhsa_kernel
	.section	.text._ZN8rajaperf4apps15Mass3DPA_AtomicILm64EEEvPdS2_S2_PlS2_,"axG",@progbits,_ZN8rajaperf4apps15Mass3DPA_AtomicILm64EEEvPdS2_S2_PlS2_,comdat
.Lfunc_end0:
	.size	_ZN8rajaperf4apps15Mass3DPA_AtomicILm64EEEvPdS2_S2_PlS2_, .Lfunc_end0-_ZN8rajaperf4apps15Mass3DPA_AtomicILm64EEEvPdS2_S2_PlS2_
                                        ; -- End function
	.set _ZN8rajaperf4apps15Mass3DPA_AtomicILm64EEEvPdS2_S2_PlS2_.num_vgpr, 19
	.set _ZN8rajaperf4apps15Mass3DPA_AtomicILm64EEEvPdS2_S2_PlS2_.num_agpr, 0
	.set _ZN8rajaperf4apps15Mass3DPA_AtomicILm64EEEvPdS2_S2_PlS2_.numbered_sgpr, 18
	.set _ZN8rajaperf4apps15Mass3DPA_AtomicILm64EEEvPdS2_S2_PlS2_.num_named_barrier, 0
	.set _ZN8rajaperf4apps15Mass3DPA_AtomicILm64EEEvPdS2_S2_PlS2_.private_seg_size, 0
	.set _ZN8rajaperf4apps15Mass3DPA_AtomicILm64EEEvPdS2_S2_PlS2_.uses_vcc, 1
	.set _ZN8rajaperf4apps15Mass3DPA_AtomicILm64EEEvPdS2_S2_PlS2_.uses_flat_scratch, 0
	.set _ZN8rajaperf4apps15Mass3DPA_AtomicILm64EEEvPdS2_S2_PlS2_.has_dyn_sized_stack, 0
	.set _ZN8rajaperf4apps15Mass3DPA_AtomicILm64EEEvPdS2_S2_PlS2_.has_recursion, 0
	.set _ZN8rajaperf4apps15Mass3DPA_AtomicILm64EEEvPdS2_S2_PlS2_.has_indirect_call, 0
	.section	.AMDGPU.csdata,"",@progbits
; Kernel info:
; codeLenInByte = 1520
; TotalNumSgprs: 22
; NumVgprs: 19
; ScratchSize: 0
; MemoryBound: 0
; FloatMode: 240
; IeeeMode: 1
; LDSByteSize: 1440 bytes/workgroup (compile time only)
; SGPRBlocks: 2
; VGPRBlocks: 4
; NumSGPRsForWavesPerEU: 22
; NumVGPRsForWavesPerEU: 19
; Occupancy: 10
; WaveLimiterHint : 1
; COMPUTE_PGM_RSRC2:SCRATCH_EN: 0
; COMPUTE_PGM_RSRC2:USER_SGPR: 6
; COMPUTE_PGM_RSRC2:TRAP_HANDLER: 0
; COMPUTE_PGM_RSRC2:TGID_X_EN: 1
; COMPUTE_PGM_RSRC2:TGID_Y_EN: 0
; COMPUTE_PGM_RSRC2:TGID_Z_EN: 0
; COMPUTE_PGM_RSRC2:TIDIG_COMP_CNT: 2
	.section	.text._ZN4RAJA34launch_new_reduce_global_fcn_fixedIZN8rajaperf4apps15MASS3DPA_ATOMIC17runHipVariantImplILm64EEEvNS1_9VariantIDEEUlNS_14LaunchContextTINS_3hip33LaunchContextIndicesAndDimsPolicyINS7_14IndicesAndDimsILb0ELb0ELb0ELb0EEEEEEEE_Li64ENS_4expt15ForallParamPackIJEEEEEvT_T1_,"axG",@progbits,_ZN4RAJA34launch_new_reduce_global_fcn_fixedIZN8rajaperf4apps15MASS3DPA_ATOMIC17runHipVariantImplILm64EEEvNS1_9VariantIDEEUlNS_14LaunchContextTINS_3hip33LaunchContextIndicesAndDimsPolicyINS7_14IndicesAndDimsILb0ELb0ELb0ELb0EEEEEEEE_Li64ENS_4expt15ForallParamPackIJEEEEEvT_T1_,comdat
	.protected	_ZN4RAJA34launch_new_reduce_global_fcn_fixedIZN8rajaperf4apps15MASS3DPA_ATOMIC17runHipVariantImplILm64EEEvNS1_9VariantIDEEUlNS_14LaunchContextTINS_3hip33LaunchContextIndicesAndDimsPolicyINS7_14IndicesAndDimsILb0ELb0ELb0ELb0EEEEEEEE_Li64ENS_4expt15ForallParamPackIJEEEEEvT_T1_ ; -- Begin function _ZN4RAJA34launch_new_reduce_global_fcn_fixedIZN8rajaperf4apps15MASS3DPA_ATOMIC17runHipVariantImplILm64EEEvNS1_9VariantIDEEUlNS_14LaunchContextTINS_3hip33LaunchContextIndicesAndDimsPolicyINS7_14IndicesAndDimsILb0ELb0ELb0ELb0EEEEEEEE_Li64ENS_4expt15ForallParamPackIJEEEEEvT_T1_
	.globl	_ZN4RAJA34launch_new_reduce_global_fcn_fixedIZN8rajaperf4apps15MASS3DPA_ATOMIC17runHipVariantImplILm64EEEvNS1_9VariantIDEEUlNS_14LaunchContextTINS_3hip33LaunchContextIndicesAndDimsPolicyINS7_14IndicesAndDimsILb0ELb0ELb0ELb0EEEEEEEE_Li64ENS_4expt15ForallParamPackIJEEEEEvT_T1_
	.p2align	8
	.type	_ZN4RAJA34launch_new_reduce_global_fcn_fixedIZN8rajaperf4apps15MASS3DPA_ATOMIC17runHipVariantImplILm64EEEvNS1_9VariantIDEEUlNS_14LaunchContextTINS_3hip33LaunchContextIndicesAndDimsPolicyINS7_14IndicesAndDimsILb0ELb0ELb0ELb0EEEEEEEE_Li64ENS_4expt15ForallParamPackIJEEEEEvT_T1_,@function
_ZN4RAJA34launch_new_reduce_global_fcn_fixedIZN8rajaperf4apps15MASS3DPA_ATOMIC17runHipVariantImplILm64EEEvNS1_9VariantIDEEUlNS_14LaunchContextTINS_3hip33LaunchContextIndicesAndDimsPolicyINS7_14IndicesAndDimsILb0ELb0ELb0ELb0EEEEEEEE_Li64ENS_4expt15ForallParamPackIJEEEEEvT_T1_: ; @_ZN4RAJA34launch_new_reduce_global_fcn_fixedIZN8rajaperf4apps15MASS3DPA_ATOMIC17runHipVariantImplILm64EEEvNS1_9VariantIDEEUlNS_14LaunchContextTINS_3hip33LaunchContextIndicesAndDimsPolicyINS7_14IndicesAndDimsILb0ELb0ELb0ELb0EEEEEEEE_Li64ENS_4expt15ForallParamPackIJEEEEEvT_T1_
; %bb.0:
	s_load_dwordx8 s[8:15], s[4:5], 0x0
	s_mov_b32 s7, 0
	v_mov_b32_e32 v3, s6
	v_mov_b32_e32 v4, s7
	s_waitcnt lgkmcnt(0)
	v_cmp_le_i64_e32 vcc, s[8:9], v[3:4]
	s_cbranch_vccnz .LBB1_32
; %bb.1:
	s_load_dwordx4 s[16:19], s[4:5], 0x20
	v_cmp_gt_u32_e32 vcc, 3, v2
	s_and_saveexec_b64 s[2:3], vcc
	s_cbranch_execz .LBB1_5
; %bb.2:
	v_cmp_gt_u32_e64 s[0:1], 3, v1
	s_and_b64 exec, exec, s[0:1]
	s_cbranch_execz .LBB1_5
; %bb.3:
	v_cmp_gt_u32_e64 s[0:1], 3, v0
	s_and_b64 exec, exec, s[0:1]
	s_cbranch_execz .LBB1_5
; %bb.4:
	v_mov_b32_e32 v3, v1
	v_mul_u32_u24_e32 v4, 3, v2
	v_mov_b32_e32 v1, 0
	v_add_u32_e32 v4, v4, v3
	v_mad_u64_u32 v[4:5], s[0:1], v4, 3, v[0:1]
	v_mov_b32_e32 v1, v3
	v_mov_b32_e32 v3, s11
	v_lshlrev_b64 v[5:6], 3, v[4:5]
	v_add_co_u32_e64 v5, s[0:1], s10, v5
	v_addc_co_u32_e64 v6, s[0:1], v3, v6, s[0:1]
	v_mov_b32_e32 v3, 0xd8
	v_mad_u64_u32 v[5:6], s[0:1], s6, v3, v[5:6]
	v_mov_b32_e32 v3, s13
	global_load_dwordx2 v[5:6], v[5:6], off
	s_waitcnt vmcnt(0)
	v_lshlrev_b64 v[7:8], 3, v[5:6]
	v_add_co_u32_e64 v7, s[0:1], s12, v7
	v_addc_co_u32_e64 v8, s[0:1], v3, v8, s[0:1]
	global_load_dwordx2 v[7:8], v[7:8], off
	v_lshlrev_b32_e32 v3, 3, v4
	ds_write_b64 v3, v[5:6] offset:1024
	v_mul_u32_u24_e32 v3, 0x48, v2
	v_mul_u32_u24_e32 v4, 24, v1
	v_lshlrev_b32_e32 v5, 3, v0
	v_add3_u32 v3, v3, v4, v5
	s_waitcnt vmcnt(0)
	ds_write_b64 v3, v[7:8]
.LBB1_5:
	s_or_b64 exec, exec, s[2:3]
	v_cmp_gt_u32_e64 s[2:3], 3, v1
	v_cmp_gt_u32_e64 s[4:5], 4, v0
	v_cmp_eq_u32_e64 s[0:1], 0, v2
	s_and_b64 s[2:3], s[2:3], s[4:5]
	s_and_b64 s[0:1], s[2:3], s[0:1]
	s_and_saveexec_b64 s[2:3], s[0:1]
	s_cbranch_execz .LBB1_7
; %bb.6:
	v_lshlrev_b32_e32 v6, 3, v0
	v_mov_b32_e32 v3, s15
	v_add_co_u32_e64 v4, s[0:1], s14, v6
	v_lshlrev_b32_e32 v5, 5, v1
	v_addc_co_u32_e64 v7, s[0:1], 0, v3, s[0:1]
	v_add_co_u32_e64 v3, s[0:1], v4, v5
	v_addc_co_u32_e64 v4, s[0:1], 0, v7, s[0:1]
	global_load_dwordx2 v[3:4], v[3:4], off
	v_lshlrev_b32_e32 v7, 3, v1
	v_add_u32_e32 v5, v5, v6
	v_mad_u32_u24 v6, v0, 24, v7
	s_waitcnt vmcnt(0)
	ds_write_b64 v6, v[3:4] offset:1248
	ds_write_b64 v5, v[3:4] offset:1344
.LBB1_7:
	s_or_b64 exec, exec, s[2:3]
	s_waitcnt lgkmcnt(0)
	; wave barrier
	s_and_saveexec_b64 s[2:3], vcc
	s_cbranch_execz .LBB1_11
; %bb.8:
	v_cmp_gt_u32_e64 s[0:1], 3, v1
	s_and_b64 exec, exec, s[0:1]
	s_cbranch_execz .LBB1_11
; %bb.9:
	v_cmp_gt_u32_e64 s[0:1], 4, v0
	s_and_b64 exec, exec, s[0:1]
	s_cbranch_execz .LBB1_11
; %bb.10:
	v_mul_u32_u24_e32 v3, 24, v1
	s_movk_i32 s0, 0x48
	v_mad_u32_u24 v11, v2, s0, v3
	v_mul_u32_u24_e32 v13, 24, v0
	ds_read2_b64 v[3:6], v13 offset0:156 offset1:157
	ds_read2_b64 v[7:10], v11 offset1:1
	ds_read_b64 v[11:12], v11 offset:16
	ds_read_b64 v[13:14], v13 offset:1264
	s_waitcnt lgkmcnt(2)
	v_fma_f64 v[3:4], v[7:8], v[3:4], 0
	v_lshlrev_b32_e32 v7, 3, v0
	v_fma_f64 v[3:4], v[9:10], v[5:6], v[3:4]
	v_mul_u32_u24_e32 v5, 0x60, v2
	v_lshlrev_b32_e32 v6, 5, v1
	v_add3_u32 v5, v5, v6, v7
	s_waitcnt lgkmcnt(0)
	v_fma_f64 v[3:4], v[11:12], v[13:14], v[3:4]
	ds_write_b64 v5, v[3:4] offset:512
.LBB1_11:
	s_or_b64 exec, exec, s[2:3]
	s_waitcnt lgkmcnt(0)
	; wave barrier
	s_and_saveexec_b64 s[2:3], vcc
	s_cbranch_execz .LBB1_15
; %bb.12:
	v_cmp_gt_u32_e64 s[0:1], 4, v1
	s_and_b64 exec, exec, s[0:1]
	s_cbranch_execz .LBB1_15
; %bb.13:
	v_cmp_gt_u32_e64 s[0:1], 4, v0
	s_and_b64 exec, exec, s[0:1]
	s_cbranch_execz .LBB1_15
; %bb.14:
	v_lshlrev_b32_e32 v13, 3, v0
	s_movk_i32 s0, 0x60
	v_mad_u32_u24 v11, v2, s0, v13
	v_mul_u32_u24_e32 v14, 24, v1
	ds_read2_b64 v[3:6], v11 offset0:64 offset1:68
	ds_read2_b64 v[7:10], v14 offset0:156 offset1:157
	ds_read_b64 v[11:12], v11 offset:576
	s_waitcnt lgkmcnt(1)
	v_fma_f64 v[3:4], v[3:4], v[7:8], 0
	v_fma_f64 v[3:4], v[5:6], v[9:10], v[3:4]
	ds_read_b64 v[5:6], v14 offset:1264
	s_waitcnt lgkmcnt(0)
	v_fma_f64 v[3:4], v[11:12], v[5:6], v[3:4]
	v_lshlrev_b32_e32 v5, 7, v2
	v_lshlrev_b32_e32 v6, 5, v1
	v_add3_u32 v5, v5, v6, v13
	ds_write_b64 v5, v[3:4]
.LBB1_15:
	s_or_b64 exec, exec, s[2:3]
	v_cmp_gt_u32_e64 s[0:1], 4, v2
	s_waitcnt lgkmcnt(0)
	; wave barrier
	s_and_saveexec_b64 s[4:5], s[0:1]
	s_cbranch_execz .LBB1_19
; %bb.16:
	v_cmp_gt_u32_e64 s[2:3], 4, v1
	s_and_b64 exec, exec, s[2:3]
	s_cbranch_execz .LBB1_19
; %bb.17:
	v_cmp_gt_u32_e64 s[2:3], 4, v0
	s_and_b64 exec, exec, s[2:3]
	s_cbranch_execz .LBB1_19
; %bb.18:
	v_lshlrev_b32_e32 v13, 5, v1
	v_lshlrev_b32_e32 v14, 3, v0
	v_add_u32_e32 v11, v13, v14
	v_mul_u32_u24_e32 v15, 24, v2
	ds_read2_b64 v[3:6], v11 offset1:16
	ds_read2_b64 v[7:10], v15 offset0:156 offset1:157
	ds_read_b64 v[11:12], v11 offset:256
	s_waitcnt lgkmcnt(1)
	v_fma_f64 v[3:4], v[3:4], v[7:8], 0
	v_mov_b32_e32 v7, s17
	v_fma_f64 v[3:4], v[5:6], v[9:10], v[3:4]
	v_add_co_u32_e64 v5, s[2:3], s16, v14
	v_addc_co_u32_e64 v6, s[2:3], 0, v7, s[2:3]
	v_add_co_u32_e64 v5, s[2:3], v5, v13
	v_addc_co_u32_e64 v6, s[2:3], 0, v6, s[2:3]
	v_lshlrev_b32_e32 v9, 7, v2
	v_add_co_u32_e64 v5, s[2:3], v5, v9
	v_addc_co_u32_e64 v6, s[2:3], 0, v6, s[2:3]
	s_lshl_b64 s[2:3], s[6:7], 9
	v_mov_b32_e32 v7, s3
	v_add_co_u32_e64 v5, s[2:3], s2, v5
	v_addc_co_u32_e64 v6, s[2:3], v6, v7, s[2:3]
	global_load_dwordx2 v[5:6], v[5:6], off
	ds_read_b64 v[7:8], v15 offset:1264
	s_waitcnt lgkmcnt(0)
	v_fma_f64 v[3:4], v[11:12], v[7:8], v[3:4]
	s_waitcnt vmcnt(0)
	v_mul_f64 v[3:4], v[5:6], v[3:4]
	v_add3_u32 v5, v9, v13, v14
	ds_write_b64 v5, v[3:4] offset:512
.LBB1_19:
	s_or_b64 exec, exec, s[4:5]
	s_waitcnt lgkmcnt(0)
	; wave barrier
	s_and_saveexec_b64 s[4:5], s[0:1]
	s_cbranch_execz .LBB1_23
; %bb.20:
	v_cmp_gt_u32_e64 s[2:3], 4, v1
	s_and_b64 exec, exec, s[2:3]
	s_cbranch_execz .LBB1_23
; %bb.21:
	v_cmp_gt_u32_e64 s[2:3], 3, v0
	s_and_b64 exec, exec, s[2:3]
	s_cbranch_execz .LBB1_23
; %bb.22:
	v_lshlrev_b32_e32 v3, 5, v1
	v_lshl_add_u32 v11, v2, 7, v3
	v_lshlrev_b32_e32 v15, 5, v0
	ds_read_b128 v[3:6], v15 offset:1344
	ds_read_b128 v[7:10], v11 offset:512
	;; [unrolled: 1-line block ×4, first 2 shown]
	s_waitcnt lgkmcnt(2)
	v_fma_f64 v[3:4], v[7:8], v[3:4], 0
	v_lshlrev_b32_e32 v7, 3, v0
	v_fma_f64 v[3:4], v[9:10], v[5:6], v[3:4]
	v_mul_u32_u24_e32 v5, 0x60, v2
	v_mul_u32_u24_e32 v6, 24, v1
	v_add3_u32 v5, v5, v6, v7
	s_waitcnt lgkmcnt(0)
	v_fma_f64 v[3:4], v[11:12], v[15:16], v[3:4]
	v_fma_f64 v[3:4], v[13:14], v[17:18], v[3:4]
	ds_write_b64 v5, v[3:4]
.LBB1_23:
	s_or_b64 exec, exec, s[4:5]
	s_waitcnt lgkmcnt(0)
	; wave barrier
	s_and_saveexec_b64 s[2:3], s[0:1]
	s_cbranch_execz .LBB1_27
; %bb.24:
	v_cmp_gt_u32_e64 s[0:1], 3, v1
	s_and_b64 exec, exec, s[0:1]
	s_cbranch_execz .LBB1_27
; %bb.25:
	v_cmp_gt_u32_e64 s[0:1], 3, v0
	s_and_b64 exec, exec, s[0:1]
	s_cbranch_execz .LBB1_27
; %bb.26:
	v_lshlrev_b32_e32 v15, 3, v0
	s_movk_i32 s0, 0x60
	v_mad_u32_u24 v16, v2, s0, v15
	v_lshlrev_b32_e32 v11, 5, v1
	ds_read2_b64 v[3:6], v16 offset1:3
	ds_read_b128 v[7:10], v11 offset:1344
	ds_read_b128 v[11:14], v11 offset:1360
	s_waitcnt lgkmcnt(1)
	v_fma_f64 v[3:4], v[3:4], v[7:8], 0
	v_fma_f64 v[7:8], v[5:6], v[9:10], v[3:4]
	ds_read2_b64 v[3:6], v16 offset0:6 offset1:9
	s_waitcnt lgkmcnt(0)
	v_fma_f64 v[3:4], v[3:4], v[11:12], v[7:8]
	v_fma_f64 v[3:4], v[5:6], v[13:14], v[3:4]
	v_mul_u32_u24_e32 v5, 0x48, v2
	v_mul_u32_u24_e32 v6, 24, v1
	v_add3_u32 v5, v5, v6, v15
	ds_write_b64 v5, v[3:4] offset:512
.LBB1_27:
	s_or_b64 exec, exec, s[2:3]
	s_waitcnt lgkmcnt(0)
	; wave barrier
	s_and_saveexec_b64 s[0:1], vcc
	s_cbranch_execz .LBB1_32
; %bb.28:
	v_cmp_gt_u32_e32 vcc, 3, v1
	s_and_b64 exec, exec, vcc
	s_cbranch_execz .LBB1_32
; %bb.29:
	v_cmp_gt_u32_e32 vcc, 3, v0
	s_and_b64 exec, exec, vcc
	s_cbranch_execz .LBB1_32
; %bb.30:
	v_lshlrev_b32_e32 v15, 3, v0
	v_lshlrev_b32_e32 v0, 5, v2
	v_mad_u32_u24 v16, v1, 24, v15
	ds_read_b128 v[3:6], v0 offset:1344
	ds_read2_b64 v[7:10], v16 offset0:64 offset1:73
	v_mad_u32_u24 v2, v2, 3, v1
	v_mad_u32_u24 v2, v2, 24, v15
	ds_read_b128 v[11:14], v0 offset:1360
	s_mov_b64 s[0:1], 0
	s_waitcnt lgkmcnt(1)
	v_fma_f64 v[0:1], v[7:8], v[3:4], 0
	ds_read_b64 v[2:3], v2 offset:1024
	v_mov_b32_e32 v7, s19
	s_waitcnt lgkmcnt(0)
	v_lshlrev_b64 v[2:3], 3, v[2:3]
	v_add_co_u32_e32 v4, vcc, s18, v2
	v_fma_f64 v[0:1], v[9:10], v[5:6], v[0:1]
	v_addc_co_u32_e32 v5, vcc, v7, v3, vcc
	global_load_dwordx2 v[2:3], v[4:5], off
	ds_read2_b64 v[6:9], v16 offset0:82 offset1:91
	s_waitcnt lgkmcnt(0)
	v_fma_f64 v[0:1], v[6:7], v[11:12], v[0:1]
	v_fma_f64 v[6:7], v[8:9], v[13:14], v[0:1]
.LBB1_31:                               ; =>This Inner Loop Header: Depth=1
	s_waitcnt vmcnt(0)
	v_add_f64 v[0:1], v[2:3], v[6:7]
	global_atomic_cmpswap_x2 v[0:1], v[4:5], v[0:3], off glc
	s_waitcnt vmcnt(0)
	v_cmp_eq_u64_e32 vcc, v[0:1], v[2:3]
	v_mov_b32_e32 v3, v1
	s_or_b64 s[0:1], vcc, s[0:1]
	v_mov_b32_e32 v2, v0
	s_andn2_b64 exec, exec, s[0:1]
	s_cbranch_execnz .LBB1_31
.LBB1_32:
	s_endpgm
	.section	.rodata,"a",@progbits
	.p2align	6, 0x0
	.amdhsa_kernel _ZN4RAJA34launch_new_reduce_global_fcn_fixedIZN8rajaperf4apps15MASS3DPA_ATOMIC17runHipVariantImplILm64EEEvNS1_9VariantIDEEUlNS_14LaunchContextTINS_3hip33LaunchContextIndicesAndDimsPolicyINS7_14IndicesAndDimsILb0ELb0ELb0ELb0EEEEEEEE_Li64ENS_4expt15ForallParamPackIJEEEEEvT_T1_
		.amdhsa_group_segment_fixed_size 1440
		.amdhsa_private_segment_fixed_size 0
		.amdhsa_kernarg_size 52
		.amdhsa_user_sgpr_count 6
		.amdhsa_user_sgpr_private_segment_buffer 1
		.amdhsa_user_sgpr_dispatch_ptr 0
		.amdhsa_user_sgpr_queue_ptr 0
		.amdhsa_user_sgpr_kernarg_segment_ptr 1
		.amdhsa_user_sgpr_dispatch_id 0
		.amdhsa_user_sgpr_flat_scratch_init 0
		.amdhsa_user_sgpr_private_segment_size 0
		.amdhsa_uses_dynamic_stack 0
		.amdhsa_system_sgpr_private_segment_wavefront_offset 0
		.amdhsa_system_sgpr_workgroup_id_x 1
		.amdhsa_system_sgpr_workgroup_id_y 0
		.amdhsa_system_sgpr_workgroup_id_z 0
		.amdhsa_system_sgpr_workgroup_info 0
		.amdhsa_system_vgpr_workitem_id 2
		.amdhsa_next_free_vgpr 19
		.amdhsa_next_free_sgpr 20
		.amdhsa_reserve_vcc 1
		.amdhsa_reserve_flat_scratch 0
		.amdhsa_float_round_mode_32 0
		.amdhsa_float_round_mode_16_64 0
		.amdhsa_float_denorm_mode_32 3
		.amdhsa_float_denorm_mode_16_64 3
		.amdhsa_dx10_clamp 1
		.amdhsa_ieee_mode 1
		.amdhsa_fp16_overflow 0
		.amdhsa_exception_fp_ieee_invalid_op 0
		.amdhsa_exception_fp_denorm_src 0
		.amdhsa_exception_fp_ieee_div_zero 0
		.amdhsa_exception_fp_ieee_overflow 0
		.amdhsa_exception_fp_ieee_underflow 0
		.amdhsa_exception_fp_ieee_inexact 0
		.amdhsa_exception_int_div_zero 0
	.end_amdhsa_kernel
	.section	.text._ZN4RAJA34launch_new_reduce_global_fcn_fixedIZN8rajaperf4apps15MASS3DPA_ATOMIC17runHipVariantImplILm64EEEvNS1_9VariantIDEEUlNS_14LaunchContextTINS_3hip33LaunchContextIndicesAndDimsPolicyINS7_14IndicesAndDimsILb0ELb0ELb0ELb0EEEEEEEE_Li64ENS_4expt15ForallParamPackIJEEEEEvT_T1_,"axG",@progbits,_ZN4RAJA34launch_new_reduce_global_fcn_fixedIZN8rajaperf4apps15MASS3DPA_ATOMIC17runHipVariantImplILm64EEEvNS1_9VariantIDEEUlNS_14LaunchContextTINS_3hip33LaunchContextIndicesAndDimsPolicyINS7_14IndicesAndDimsILb0ELb0ELb0ELb0EEEEEEEE_Li64ENS_4expt15ForallParamPackIJEEEEEvT_T1_,comdat
.Lfunc_end1:
	.size	_ZN4RAJA34launch_new_reduce_global_fcn_fixedIZN8rajaperf4apps15MASS3DPA_ATOMIC17runHipVariantImplILm64EEEvNS1_9VariantIDEEUlNS_14LaunchContextTINS_3hip33LaunchContextIndicesAndDimsPolicyINS7_14IndicesAndDimsILb0ELb0ELb0ELb0EEEEEEEE_Li64ENS_4expt15ForallParamPackIJEEEEEvT_T1_, .Lfunc_end1-_ZN4RAJA34launch_new_reduce_global_fcn_fixedIZN8rajaperf4apps15MASS3DPA_ATOMIC17runHipVariantImplILm64EEEvNS1_9VariantIDEEUlNS_14LaunchContextTINS_3hip33LaunchContextIndicesAndDimsPolicyINS7_14IndicesAndDimsILb0ELb0ELb0ELb0EEEEEEEE_Li64ENS_4expt15ForallParamPackIJEEEEEvT_T1_
                                        ; -- End function
	.set _ZN4RAJA34launch_new_reduce_global_fcn_fixedIZN8rajaperf4apps15MASS3DPA_ATOMIC17runHipVariantImplILm64EEEvNS1_9VariantIDEEUlNS_14LaunchContextTINS_3hip33LaunchContextIndicesAndDimsPolicyINS7_14IndicesAndDimsILb0ELb0ELb0ELb0EEEEEEEE_Li64ENS_4expt15ForallParamPackIJEEEEEvT_T1_.num_vgpr, 19
	.set _ZN4RAJA34launch_new_reduce_global_fcn_fixedIZN8rajaperf4apps15MASS3DPA_ATOMIC17runHipVariantImplILm64EEEvNS1_9VariantIDEEUlNS_14LaunchContextTINS_3hip33LaunchContextIndicesAndDimsPolicyINS7_14IndicesAndDimsILb0ELb0ELb0ELb0EEEEEEEE_Li64ENS_4expt15ForallParamPackIJEEEEEvT_T1_.num_agpr, 0
	.set _ZN4RAJA34launch_new_reduce_global_fcn_fixedIZN8rajaperf4apps15MASS3DPA_ATOMIC17runHipVariantImplILm64EEEvNS1_9VariantIDEEUlNS_14LaunchContextTINS_3hip33LaunchContextIndicesAndDimsPolicyINS7_14IndicesAndDimsILb0ELb0ELb0ELb0EEEEEEEE_Li64ENS_4expt15ForallParamPackIJEEEEEvT_T1_.numbered_sgpr, 20
	.set _ZN4RAJA34launch_new_reduce_global_fcn_fixedIZN8rajaperf4apps15MASS3DPA_ATOMIC17runHipVariantImplILm64EEEvNS1_9VariantIDEEUlNS_14LaunchContextTINS_3hip33LaunchContextIndicesAndDimsPolicyINS7_14IndicesAndDimsILb0ELb0ELb0ELb0EEEEEEEE_Li64ENS_4expt15ForallParamPackIJEEEEEvT_T1_.num_named_barrier, 0
	.set _ZN4RAJA34launch_new_reduce_global_fcn_fixedIZN8rajaperf4apps15MASS3DPA_ATOMIC17runHipVariantImplILm64EEEvNS1_9VariantIDEEUlNS_14LaunchContextTINS_3hip33LaunchContextIndicesAndDimsPolicyINS7_14IndicesAndDimsILb0ELb0ELb0ELb0EEEEEEEE_Li64ENS_4expt15ForallParamPackIJEEEEEvT_T1_.private_seg_size, 0
	.set _ZN4RAJA34launch_new_reduce_global_fcn_fixedIZN8rajaperf4apps15MASS3DPA_ATOMIC17runHipVariantImplILm64EEEvNS1_9VariantIDEEUlNS_14LaunchContextTINS_3hip33LaunchContextIndicesAndDimsPolicyINS7_14IndicesAndDimsILb0ELb0ELb0ELb0EEEEEEEE_Li64ENS_4expt15ForallParamPackIJEEEEEvT_T1_.uses_vcc, 1
	.set _ZN4RAJA34launch_new_reduce_global_fcn_fixedIZN8rajaperf4apps15MASS3DPA_ATOMIC17runHipVariantImplILm64EEEvNS1_9VariantIDEEUlNS_14LaunchContextTINS_3hip33LaunchContextIndicesAndDimsPolicyINS7_14IndicesAndDimsILb0ELb0ELb0ELb0EEEEEEEE_Li64ENS_4expt15ForallParamPackIJEEEEEvT_T1_.uses_flat_scratch, 0
	.set _ZN4RAJA34launch_new_reduce_global_fcn_fixedIZN8rajaperf4apps15MASS3DPA_ATOMIC17runHipVariantImplILm64EEEvNS1_9VariantIDEEUlNS_14LaunchContextTINS_3hip33LaunchContextIndicesAndDimsPolicyINS7_14IndicesAndDimsILb0ELb0ELb0ELb0EEEEEEEE_Li64ENS_4expt15ForallParamPackIJEEEEEvT_T1_.has_dyn_sized_stack, 0
	.set _ZN4RAJA34launch_new_reduce_global_fcn_fixedIZN8rajaperf4apps15MASS3DPA_ATOMIC17runHipVariantImplILm64EEEvNS1_9VariantIDEEUlNS_14LaunchContextTINS_3hip33LaunchContextIndicesAndDimsPolicyINS7_14IndicesAndDimsILb0ELb0ELb0ELb0EEEEEEEE_Li64ENS_4expt15ForallParamPackIJEEEEEvT_T1_.has_recursion, 0
	.set _ZN4RAJA34launch_new_reduce_global_fcn_fixedIZN8rajaperf4apps15MASS3DPA_ATOMIC17runHipVariantImplILm64EEEvNS1_9VariantIDEEUlNS_14LaunchContextTINS_3hip33LaunchContextIndicesAndDimsPolicyINS7_14IndicesAndDimsILb0ELb0ELb0ELb0EEEEEEEE_Li64ENS_4expt15ForallParamPackIJEEEEEvT_T1_.has_indirect_call, 0
	.section	.AMDGPU.csdata,"",@progbits
; Kernel info:
; codeLenInByte = 1532
; TotalNumSgprs: 24
; NumVgprs: 19
; ScratchSize: 0
; MemoryBound: 0
; FloatMode: 240
; IeeeMode: 1
; LDSByteSize: 1440 bytes/workgroup (compile time only)
; SGPRBlocks: 2
; VGPRBlocks: 4
; NumSGPRsForWavesPerEU: 24
; NumVGPRsForWavesPerEU: 19
; Occupancy: 10
; WaveLimiterHint : 1
; COMPUTE_PGM_RSRC2:SCRATCH_EN: 0
; COMPUTE_PGM_RSRC2:USER_SGPR: 6
; COMPUTE_PGM_RSRC2:TRAP_HANDLER: 0
; COMPUTE_PGM_RSRC2:TGID_X_EN: 1
; COMPUTE_PGM_RSRC2:TGID_Y_EN: 0
; COMPUTE_PGM_RSRC2:TGID_Z_EN: 0
; COMPUTE_PGM_RSRC2:TIDIG_COMP_CNT: 2
	.section	.AMDGPU.gpr_maximums,"",@progbits
	.set amdgpu.max_num_vgpr, 0
	.set amdgpu.max_num_agpr, 0
	.set amdgpu.max_num_sgpr, 0
	.section	.AMDGPU.csdata,"",@progbits
	.type	__hip_cuid_3b9d22c96ddadbec,@object ; @__hip_cuid_3b9d22c96ddadbec
	.section	.bss,"aw",@nobits
	.globl	__hip_cuid_3b9d22c96ddadbec
__hip_cuid_3b9d22c96ddadbec:
	.byte	0                               ; 0x0
	.size	__hip_cuid_3b9d22c96ddadbec, 1

	.ident	"AMD clang version 22.0.0git (https://github.com/RadeonOpenCompute/llvm-project roc-7.2.4 26084 f58b06dce1f9c15707c5f808fd002e18c2accf7e)"
	.section	".note.GNU-stack","",@progbits
	.addrsig
	.addrsig_sym __hip_cuid_3b9d22c96ddadbec
	.amdgpu_metadata
---
amdhsa.kernels:
  - .args:
      - .address_space:  global
        .offset:         0
        .size:           8
        .value_kind:     global_buffer
      - .address_space:  global
        .offset:         8
        .size:           8
        .value_kind:     global_buffer
      - .address_space:  global
        .offset:         16
        .size:           8
        .value_kind:     global_buffer
      - .address_space:  global
        .offset:         24
        .size:           8
        .value_kind:     global_buffer
      - .address_space:  global
        .offset:         32
        .size:           8
        .value_kind:     global_buffer
    .group_segment_fixed_size: 1440
    .kernarg_segment_align: 8
    .kernarg_segment_size: 40
    .language:       OpenCL C
    .language_version:
      - 2
      - 0
    .max_flat_workgroup_size: 64
    .name:           _ZN8rajaperf4apps15Mass3DPA_AtomicILm64EEEvPdS2_S2_PlS2_
    .private_segment_fixed_size: 0
    .sgpr_count:     22
    .sgpr_spill_count: 0
    .symbol:         _ZN8rajaperf4apps15Mass3DPA_AtomicILm64EEEvPdS2_S2_PlS2_.kd
    .uniform_work_group_size: 1
    .uses_dynamic_stack: false
    .vgpr_count:     19
    .vgpr_spill_count: 0
    .wavefront_size: 64
  - .args:
      - .offset:         0
        .size:           48
        .value_kind:     by_value
      - .offset:         48
        .size:           1
        .value_kind:     by_value
    .group_segment_fixed_size: 1440
    .kernarg_segment_align: 8
    .kernarg_segment_size: 52
    .language:       OpenCL C
    .language_version:
      - 2
      - 0
    .max_flat_workgroup_size: 64
    .name:           _ZN4RAJA34launch_new_reduce_global_fcn_fixedIZN8rajaperf4apps15MASS3DPA_ATOMIC17runHipVariantImplILm64EEEvNS1_9VariantIDEEUlNS_14LaunchContextTINS_3hip33LaunchContextIndicesAndDimsPolicyINS7_14IndicesAndDimsILb0ELb0ELb0ELb0EEEEEEEE_Li64ENS_4expt15ForallParamPackIJEEEEEvT_T1_
    .private_segment_fixed_size: 0
    .sgpr_count:     24
    .sgpr_spill_count: 0
    .symbol:         _ZN4RAJA34launch_new_reduce_global_fcn_fixedIZN8rajaperf4apps15MASS3DPA_ATOMIC17runHipVariantImplILm64EEEvNS1_9VariantIDEEUlNS_14LaunchContextTINS_3hip33LaunchContextIndicesAndDimsPolicyINS7_14IndicesAndDimsILb0ELb0ELb0ELb0EEEEEEEE_Li64ENS_4expt15ForallParamPackIJEEEEEvT_T1_.kd
    .uniform_work_group_size: 1
    .uses_dynamic_stack: false
    .vgpr_count:     19
    .vgpr_spill_count: 0
    .wavefront_size: 64
amdhsa.target:   amdgcn-amd-amdhsa--gfx906
amdhsa.version:
  - 1
  - 2
...

	.end_amdgpu_metadata
